;; amdgpu-corpus repo=ROCm/rocFFT kind=compiled arch=gfx906 opt=O3
	.text
	.amdgcn_target "amdgcn-amd-amdhsa--gfx906"
	.amdhsa_code_object_version 6
	.protected	fft_rtc_fwd_len1989_factors_17_13_9_wgs_153_tpt_153_halfLds_half_ip_CI_unitstride_sbrr_dirReg ; -- Begin function fft_rtc_fwd_len1989_factors_17_13_9_wgs_153_tpt_153_halfLds_half_ip_CI_unitstride_sbrr_dirReg
	.globl	fft_rtc_fwd_len1989_factors_17_13_9_wgs_153_tpt_153_halfLds_half_ip_CI_unitstride_sbrr_dirReg
	.p2align	8
	.type	fft_rtc_fwd_len1989_factors_17_13_9_wgs_153_tpt_153_halfLds_half_ip_CI_unitstride_sbrr_dirReg,@function
fft_rtc_fwd_len1989_factors_17_13_9_wgs_153_tpt_153_halfLds_half_ip_CI_unitstride_sbrr_dirReg: ; @fft_rtc_fwd_len1989_factors_17_13_9_wgs_153_tpt_153_halfLds_half_ip_CI_unitstride_sbrr_dirReg
; %bb.0:
	s_load_dwordx2 s[12:13], s[4:5], 0x50
	s_load_dwordx4 s[8:11], s[4:5], 0x0
	s_load_dwordx2 s[2:3], s[4:5], 0x18
	v_mul_u32_u24_e32 v1, 0x1ad, v0
	v_add_u32_sdwa v5, s6, v1 dst_sel:DWORD dst_unused:UNUSED_PAD src0_sel:DWORD src1_sel:WORD_1
	v_mov_b32_e32 v3, 0
	s_waitcnt lgkmcnt(0)
	v_cmp_lt_u64_e64 s[0:1], s[10:11], 2
	v_mov_b32_e32 v1, 0
	v_mov_b32_e32 v6, v3
	s_and_b64 vcc, exec, s[0:1]
	v_mov_b32_e32 v2, 0
	s_cbranch_vccnz .LBB0_8
; %bb.1:
	s_load_dwordx2 s[0:1], s[4:5], 0x10
	s_add_u32 s6, s2, 8
	s_addc_u32 s7, s3, 0
	v_mov_b32_e32 v1, 0
	v_mov_b32_e32 v2, 0
	s_waitcnt lgkmcnt(0)
	s_add_u32 s14, s0, 8
	s_addc_u32 s15, s1, 0
	s_mov_b64 s[16:17], 1
.LBB0_2:                                ; =>This Inner Loop Header: Depth=1
	s_load_dwordx2 s[18:19], s[14:15], 0x0
                                        ; implicit-def: $vgpr7_vgpr8
	s_waitcnt lgkmcnt(0)
	v_or_b32_e32 v4, s19, v6
	v_cmp_ne_u64_e32 vcc, 0, v[3:4]
	s_and_saveexec_b64 s[0:1], vcc
	s_xor_b64 s[20:21], exec, s[0:1]
	s_cbranch_execz .LBB0_4
; %bb.3:                                ;   in Loop: Header=BB0_2 Depth=1
	v_cvt_f32_u32_e32 v4, s18
	v_cvt_f32_u32_e32 v7, s19
	s_sub_u32 s0, 0, s18
	s_subb_u32 s1, 0, s19
	v_mac_f32_e32 v4, 0x4f800000, v7
	v_rcp_f32_e32 v4, v4
	v_mul_f32_e32 v4, 0x5f7ffffc, v4
	v_mul_f32_e32 v7, 0x2f800000, v4
	v_trunc_f32_e32 v7, v7
	v_mac_f32_e32 v4, 0xcf800000, v7
	v_cvt_u32_f32_e32 v7, v7
	v_cvt_u32_f32_e32 v4, v4
	v_mul_lo_u32 v8, s0, v7
	v_mul_hi_u32 v9, s0, v4
	v_mul_lo_u32 v11, s1, v4
	v_mul_lo_u32 v10, s0, v4
	v_add_u32_e32 v8, v9, v8
	v_add_u32_e32 v8, v8, v11
	v_mul_hi_u32 v9, v4, v10
	v_mul_lo_u32 v11, v4, v8
	v_mul_hi_u32 v13, v4, v8
	v_mul_hi_u32 v12, v7, v10
	v_mul_lo_u32 v10, v7, v10
	v_mul_hi_u32 v14, v7, v8
	v_add_co_u32_e32 v9, vcc, v9, v11
	v_addc_co_u32_e32 v11, vcc, 0, v13, vcc
	v_mul_lo_u32 v8, v7, v8
	v_add_co_u32_e32 v9, vcc, v9, v10
	v_addc_co_u32_e32 v9, vcc, v11, v12, vcc
	v_addc_co_u32_e32 v10, vcc, 0, v14, vcc
	v_add_co_u32_e32 v8, vcc, v9, v8
	v_addc_co_u32_e32 v9, vcc, 0, v10, vcc
	v_add_co_u32_e32 v4, vcc, v4, v8
	v_addc_co_u32_e32 v7, vcc, v7, v9, vcc
	v_mul_lo_u32 v8, s0, v7
	v_mul_hi_u32 v9, s0, v4
	v_mul_lo_u32 v10, s1, v4
	v_mul_lo_u32 v11, s0, v4
	v_add_u32_e32 v8, v9, v8
	v_add_u32_e32 v8, v8, v10
	v_mul_lo_u32 v12, v4, v8
	v_mul_hi_u32 v13, v4, v11
	v_mul_hi_u32 v14, v4, v8
	;; [unrolled: 1-line block ×3, first 2 shown]
	v_mul_lo_u32 v11, v7, v11
	v_mul_hi_u32 v9, v7, v8
	v_add_co_u32_e32 v12, vcc, v13, v12
	v_addc_co_u32_e32 v13, vcc, 0, v14, vcc
	v_mul_lo_u32 v8, v7, v8
	v_add_co_u32_e32 v11, vcc, v12, v11
	v_addc_co_u32_e32 v10, vcc, v13, v10, vcc
	v_addc_co_u32_e32 v9, vcc, 0, v9, vcc
	v_add_co_u32_e32 v8, vcc, v10, v8
	v_addc_co_u32_e32 v9, vcc, 0, v9, vcc
	v_add_co_u32_e32 v4, vcc, v4, v8
	v_addc_co_u32_e32 v9, vcc, v7, v9, vcc
	v_mad_u64_u32 v[7:8], s[0:1], v5, v9, 0
	v_mul_hi_u32 v10, v5, v4
	v_add_co_u32_e32 v11, vcc, v10, v7
	v_addc_co_u32_e32 v12, vcc, 0, v8, vcc
	v_mad_u64_u32 v[7:8], s[0:1], v6, v4, 0
	v_mad_u64_u32 v[9:10], s[0:1], v6, v9, 0
	v_add_co_u32_e32 v4, vcc, v11, v7
	v_addc_co_u32_e32 v4, vcc, v12, v8, vcc
	v_addc_co_u32_e32 v7, vcc, 0, v10, vcc
	v_add_co_u32_e32 v4, vcc, v4, v9
	v_addc_co_u32_e32 v9, vcc, 0, v7, vcc
	v_mul_lo_u32 v10, s19, v4
	v_mul_lo_u32 v11, s18, v9
	v_mad_u64_u32 v[7:8], s[0:1], s18, v4, 0
	v_add3_u32 v8, v8, v11, v10
	v_sub_u32_e32 v10, v6, v8
	v_mov_b32_e32 v11, s19
	v_sub_co_u32_e32 v7, vcc, v5, v7
	v_subb_co_u32_e64 v10, s[0:1], v10, v11, vcc
	v_subrev_co_u32_e64 v11, s[0:1], s18, v7
	v_subbrev_co_u32_e64 v10, s[0:1], 0, v10, s[0:1]
	v_cmp_le_u32_e64 s[0:1], s19, v10
	v_cndmask_b32_e64 v12, 0, -1, s[0:1]
	v_cmp_le_u32_e64 s[0:1], s18, v11
	v_cndmask_b32_e64 v11, 0, -1, s[0:1]
	v_cmp_eq_u32_e64 s[0:1], s19, v10
	v_cndmask_b32_e64 v10, v12, v11, s[0:1]
	v_add_co_u32_e64 v11, s[0:1], 2, v4
	v_addc_co_u32_e64 v12, s[0:1], 0, v9, s[0:1]
	v_add_co_u32_e64 v13, s[0:1], 1, v4
	v_addc_co_u32_e64 v14, s[0:1], 0, v9, s[0:1]
	v_subb_co_u32_e32 v8, vcc, v6, v8, vcc
	v_cmp_ne_u32_e64 s[0:1], 0, v10
	v_cmp_le_u32_e32 vcc, s19, v8
	v_cndmask_b32_e64 v10, v14, v12, s[0:1]
	v_cndmask_b32_e64 v12, 0, -1, vcc
	v_cmp_le_u32_e32 vcc, s18, v7
	v_cndmask_b32_e64 v7, 0, -1, vcc
	v_cmp_eq_u32_e32 vcc, s19, v8
	v_cndmask_b32_e32 v7, v12, v7, vcc
	v_cmp_ne_u32_e32 vcc, 0, v7
	v_cndmask_b32_e64 v7, v13, v11, s[0:1]
	v_cndmask_b32_e32 v8, v9, v10, vcc
	v_cndmask_b32_e32 v7, v4, v7, vcc
.LBB0_4:                                ;   in Loop: Header=BB0_2 Depth=1
	s_andn2_saveexec_b64 s[0:1], s[20:21]
	s_cbranch_execz .LBB0_6
; %bb.5:                                ;   in Loop: Header=BB0_2 Depth=1
	v_cvt_f32_u32_e32 v4, s18
	s_sub_i32 s20, 0, s18
	v_rcp_iflag_f32_e32 v4, v4
	v_mul_f32_e32 v4, 0x4f7ffffe, v4
	v_cvt_u32_f32_e32 v4, v4
	v_mul_lo_u32 v7, s20, v4
	v_mul_hi_u32 v7, v4, v7
	v_add_u32_e32 v4, v4, v7
	v_mul_hi_u32 v4, v5, v4
	v_mul_lo_u32 v7, v4, s18
	v_add_u32_e32 v8, 1, v4
	v_sub_u32_e32 v7, v5, v7
	v_subrev_u32_e32 v9, s18, v7
	v_cmp_le_u32_e32 vcc, s18, v7
	v_cndmask_b32_e32 v7, v7, v9, vcc
	v_cndmask_b32_e32 v4, v4, v8, vcc
	v_add_u32_e32 v8, 1, v4
	v_cmp_le_u32_e32 vcc, s18, v7
	v_cndmask_b32_e32 v7, v4, v8, vcc
	v_mov_b32_e32 v8, v3
.LBB0_6:                                ;   in Loop: Header=BB0_2 Depth=1
	s_or_b64 exec, exec, s[0:1]
	v_mul_lo_u32 v4, v8, s18
	v_mul_lo_u32 v11, v7, s19
	v_mad_u64_u32 v[9:10], s[0:1], v7, s18, 0
	s_load_dwordx2 s[0:1], s[6:7], 0x0
	s_add_u32 s16, s16, 1
	v_add3_u32 v4, v10, v11, v4
	v_sub_co_u32_e32 v5, vcc, v5, v9
	v_subb_co_u32_e32 v4, vcc, v6, v4, vcc
	s_waitcnt lgkmcnt(0)
	v_mul_lo_u32 v4, s0, v4
	v_mul_lo_u32 v6, s1, v5
	v_mad_u64_u32 v[1:2], s[0:1], s0, v5, v[1:2]
	s_addc_u32 s17, s17, 0
	s_add_u32 s6, s6, 8
	v_add3_u32 v2, v6, v2, v4
	v_mov_b32_e32 v4, s10
	v_mov_b32_e32 v5, s11
	s_addc_u32 s7, s7, 0
	v_cmp_ge_u64_e32 vcc, s[16:17], v[4:5]
	s_add_u32 s14, s14, 8
	s_addc_u32 s15, s15, 0
	s_cbranch_vccnz .LBB0_9
; %bb.7:                                ;   in Loop: Header=BB0_2 Depth=1
	v_mov_b32_e32 v5, v7
	v_mov_b32_e32 v6, v8
	s_branch .LBB0_2
.LBB0_8:
	v_mov_b32_e32 v8, v6
	v_mov_b32_e32 v7, v5
.LBB0_9:
	s_lshl_b64 s[0:1], s[10:11], 3
	s_add_u32 s0, s2, s0
	s_addc_u32 s1, s3, s1
	s_load_dwordx2 s[2:3], s[0:1], 0x0
	s_load_dwordx2 s[6:7], s[4:5], 0x20
                                        ; implicit-def: $vgpr9
                                        ; implicit-def: $vgpr10
                                        ; implicit-def: $vgpr24
                                        ; implicit-def: $vgpr11
                                        ; implicit-def: $vgpr25
                                        ; implicit-def: $vgpr12
                                        ; implicit-def: $vgpr26
                                        ; implicit-def: $vgpr15
                                        ; implicit-def: $vgpr27
                                        ; implicit-def: $vgpr18
                                        ; implicit-def: $vgpr28
                                        ; implicit-def: $vgpr21
                                        ; implicit-def: $vgpr29
                                        ; implicit-def: $vgpr13
                                        ; implicit-def: $vgpr30
                                        ; implicit-def: $vgpr34
                                        ; implicit-def: $vgpr14
                                        ; implicit-def: $vgpr31
                                        ; implicit-def: $vgpr16
                                        ; implicit-def: $vgpr32
                                        ; implicit-def: $vgpr17
                                        ; implicit-def: $vgpr33
                                        ; implicit-def: $vgpr19
                                        ; implicit-def: $vgpr35
                                        ; implicit-def: $vgpr20
                                        ; implicit-def: $vgpr36
                                        ; implicit-def: $vgpr22
                                        ; implicit-def: $vgpr37
                                        ; implicit-def: $vgpr23
                                        ; implicit-def: $vgpr38
	s_waitcnt lgkmcnt(0)
	v_mad_u64_u32 v[1:2], s[0:1], s2, v7, v[1:2]
	s_mov_b32 s0, 0x1ac5702
	v_mul_lo_u32 v3, s2, v8
	v_mul_lo_u32 v4, s3, v7
	v_mul_hi_u32 v5, v0, s0
	v_cmp_gt_u64_e32 vcc, s[6:7], v[7:8]
	s_movk_i32 s0, 0x75
	v_add3_u32 v2, v4, v2, v3
	v_mul_u32_u24_e32 v3, 0x99, v5
	v_sub_u32_e32 v4, v0, v3
	v_cmp_gt_u32_e64 s[0:1], s0, v4
	v_lshlrev_b64 v[6:7], 2, v[1:2]
	s_and_b64 s[2:3], vcc, s[0:1]
	v_mov_b32_e32 v0, 0
	v_mov_b32_e32 v8, 0
                                        ; implicit-def: $vgpr5
	s_and_saveexec_b64 s[4:5], s[2:3]
	s_cbranch_execz .LBB0_11
; %bb.10:
	v_mov_b32_e32 v5, 0
	v_mov_b32_e32 v0, s13
	v_add_co_u32_e64 v2, s[2:3], s12, v6
	v_addc_co_u32_e64 v3, s[2:3], v0, v7, s[2:3]
	v_lshlrev_b64 v[0:1], 2, v[4:5]
	v_add_co_u32_e64 v2, s[2:3], v2, v0
	v_addc_co_u32_e64 v3, s[2:3], v3, v1, s[2:3]
	s_movk_i32 s2, 0x1000
	v_add_co_u32_e64 v1, s[2:3], s2, v2
	global_load_dword v0, v[2:3], off
	global_load_dword v5, v[2:3], off offset:468
	global_load_dword v24, v[2:3], off offset:936
	;; [unrolled: 1-line block ×8, first 2 shown]
	v_addc_co_u32_e64 v2, s[2:3], 0, v3, s[2:3]
	global_load_dword v31, v[1:2], off offset:584
	global_load_dword v32, v[1:2], off offset:1052
	;; [unrolled: 1-line block ×8, first 2 shown]
	s_mov_b32 s2, 0x7060302
	s_waitcnt vmcnt(15)
	v_lshrrev_b32_e32 v9, 16, v5
	s_waitcnt vmcnt(14)
	v_lshrrev_b32_e32 v10, 16, v24
	s_waitcnt vmcnt(13)
	v_lshrrev_b32_e32 v11, 16, v25
	s_waitcnt vmcnt(12)
	v_lshrrev_b32_e32 v12, 16, v26
	s_waitcnt vmcnt(11)
	v_lshrrev_b32_e32 v15, 16, v27
	s_waitcnt vmcnt(10)
	v_lshrrev_b32_e32 v18, 16, v28
	s_waitcnt vmcnt(9)
	v_lshrrev_b32_e32 v21, 16, v29
	s_waitcnt vmcnt(8)
	v_lshrrev_b32_e32 v13, 16, v30
	s_waitcnt vmcnt(7)
	v_lshrrev_b32_e32 v14, 16, v31
	s_waitcnt vmcnt(6)
	v_lshrrev_b32_e32 v16, 16, v32
	s_waitcnt vmcnt(5)
	v_lshrrev_b32_e32 v17, 16, v33
	s_waitcnt vmcnt(4)
	v_lshrrev_b32_e32 v19, 16, v35
	s_waitcnt vmcnt(3)
	v_lshrrev_b32_e32 v20, 16, v36
	s_waitcnt vmcnt(2)
	v_lshrrev_b32_e32 v22, 16, v37
	s_waitcnt vmcnt(1)
	v_lshrrev_b32_e32 v23, 16, v38
	s_waitcnt vmcnt(0)
	v_perm_b32 v8, v0, v34, s2
.LBB0_11:
	s_or_b64 exec, exec, s[4:5]
	s_mov_b32 s4, 0x3b7639e9
	v_add_f16_e32 v58, v5, v38
	s_mov_b32 s23, 0xb5c8b964
	v_sub_f16_e32 v54, v9, v23
	v_pk_mul_f16 v41, v58, s4 op_sel_hi:[0,1]
	s_mov_b32 s5, 0x39e92de8
	v_add_f16_e32 v59, v24, v37
	v_pk_fma_f16 v1, v54, s23, v41 op_sel_hi:[0,1,1]
	s_mov_b32 s25, 0xb964bbf7
	v_sub_f16_e32 v55, v10, v22
	v_pk_mul_f16 v44, v59, s5 op_sel_hi:[0,1]
	s_mov_b32 s6, 0x3722b8d2
	v_add_f16_e32 v61, v25, v36
	v_pk_add_f16 v1, v0, v1 op_sel_hi:[0,1]
	v_pk_fma_f16 v2, v55, s25, v44 op_sel_hi:[0,1,1]
	s_mov_b32 s26, 0xbb29ba62
	v_sub_f16_e32 v56, v11, v20
	v_pk_mul_f16 v42, v61, s6 op_sel_hi:[0,1]
	s_mov_b32 s7, 0x2de8bbdd
	v_add_f16_e32 v63, v26, v35
	v_pk_add_f16 v1, v2, v1
	v_pk_fma_f16 v2, v56, s26, v42 op_sel_hi:[0,1,1]
	s_mov_b32 s27, 0xbbf7b1e1
	v_sub_f16_e32 v57, v12, v19
	v_pk_mul_f16 v43, v63, s7 op_sel_hi:[0,1]
	v_pk_add_f16 v1, v2, v1
	v_pk_fma_f16 v2, v57, s27, v43 op_sel_hi:[0,1,1]
	s_mov_b32 s10, 0xb461bacd
	v_add_f16_e32 v65, v27, v33
	v_pk_add_f16 v2, v2, v1
	s_mov_b32 s28, 0xbbb23836
	v_sub_f16_e32 v60, v15, v17
	v_pk_mul_f16 v1, v65, s10 op_sel_hi:[0,1]
	s_mov_b32 s11, 0xb8d2b461
	v_add_f16_e32 v66, v28, v32
	v_pk_fma_f16 v3, v60, s28, v1 op_sel_hi:[0,1,1]
	s_mov_b32 s29, 0xba623bb2
	v_sub_f16_e32 v62, v18, v16
	v_pk_mul_f16 v39, v66, s11 op_sel_hi:[0,1]
	s_mov_b32 s14, 0xbacd3722
	v_add_f16_e32 v67, v29, v31
	v_pk_add_f16 v2, v3, v2
	v_pk_fma_f16 v3, v62, s29, v39 op_sel_hi:[0,1,1]
	s_mov_b32 s30, 0xb8363b29
	v_sub_f16_e32 v64, v21, v14
	v_pk_mul_f16 v40, v67, s14 op_sel_hi:[0,1]
	s_mov_b32 s15, 0x37222de8
	v_pk_add_f16 v2, v3, v2
	v_pk_fma_f16 v3, v64, s30, v40 op_sel_hi:[0,1,1]
	s_mov_b32 s31, 0xbb29bbf7
	v_pk_mul_f16 v45, v58, s15 op_sel_hi:[0,1]
	s_mov_b32 s16, 0xb8d2bbdd
	v_pk_add_f16 v2, v3, v2
	v_pk_fma_f16 v3, v54, s31, v45 op_sel_hi:[0,1,1]
	s_mov_b32 s33, 0xba62b1e1
	v_pk_mul_f16 v46, v59, s16 op_sel_hi:[0,1]
	v_pk_add_f16 v3, v0, v3 op_sel_hi:[0,1]
	v_pk_fma_f16 v47, v55, s33, v46 op_sel_hi:[0,1,1]
	s_mov_b32 s17, 0xbbddb461
	v_pk_add_f16 v3, v47, v3
	s_mov_b32 s34, 0x31e13bb2
	v_pk_mul_f16 v47, v61, s17 op_sel_hi:[0,1]
	v_pk_fma_f16 v48, v56, s34, v47 op_sel_hi:[0,1,1]
	s_mov_b32 s18, 0xb4613b76
	v_pk_add_f16 v3, v48, v3
	s_mov_b32 s35, 0x3bb235c8
	v_pk_mul_f16 v48, v63, s18 op_sel_hi:[0,1]
	;; [unrolled: 5-line block ×5, first 2 shown]
	v_pk_fma_f16 v52, v64, s38, v51 op_sel_hi:[0,1,1]
	s_mov_b32 s24, 0xbbdd3b76
	s_mov_b32 s22, 0xbacd39e9
	v_add_f16_e32 v69, v30, v34
	v_pk_add_f16 v70, v52, v3
	s_mov_b32 s40, 0xb1e135c8
	s_mov_b32 s39, 0xb8363964
	v_sub_f16_e32 v68, v13, v8
	v_pk_mul_f16 v53, v69, s24 op_sel_hi:[0,1]
	v_pk_mul_f16 v52, v69, s22 op_sel_hi:[0,1]
	v_pk_fma_f16 v3, v68, s40, v53 op_sel_hi:[0,1,1]
	v_pk_fma_f16 v71, v68, s39, v52 op_sel_hi:[0,1,1]
	v_pk_add_f16 v3, v3, v2
	v_pk_add_f16 v2, v71, v70
	s_and_saveexec_b64 s[2:3], s[0:1]
	s_cbranch_execz .LBB0_13
; %bb.12:
	v_pk_mul_f16 v71, v54, s23 op_sel_hi:[0,1]
	s_mov_b32 s41, 0x5040100
	v_perm_b32 v72, v0, v0, s41
	v_pk_mul_f16 v74, v55, s25 op_sel_hi:[0,1]
	v_pk_add_f16 v41, v41, v71 neg_lo:[0,1] neg_hi:[0,1]
	v_pk_mul_f16 v76, v56, s26 op_sel_hi:[0,1]
	v_add_f16_e32 v0, v0, v5
	v_pk_add_f16 v44, v44, v74 neg_lo:[0,1] neg_hi:[0,1]
	v_pk_add_f16 v41, v72, v41
	v_pk_mul_f16 v78, v57, s27 op_sel_hi:[0,1]
	v_add_f16_e32 v0, v0, v24
	v_pk_add_f16 v41, v44, v41
	v_pk_add_f16 v42, v42, v76 neg_lo:[0,1] neg_hi:[0,1]
	v_pk_mul_f16 v80, v60, s28 op_sel_hi:[0,1]
	v_add_f16_e32 v0, v0, v25
	v_pk_add_f16 v41, v42, v41
	v_pk_add_f16 v42, v43, v78 neg_lo:[0,1] neg_hi:[0,1]
	;; [unrolled: 4-line block ×5, first 2 shown]
	v_add_f16_e32 v0, v0, v29
	v_pk_add_f16 v1, v39, v1
	v_pk_add_f16 v39, v53, v86 neg_lo:[0,1] neg_hi:[0,1]
	v_pack_b32_f16 v70, v54, v54
	v_pk_mul_f16 v54, v54, s31 op_sel_hi:[0,1]
	v_add_f16_e32 v0, v0, v30
	v_pk_add_f16 v1, v39, v1
	v_pack_b32_f16 v73, v55, v55
	v_pk_mul_f16 v55, v55, s33 op_sel_hi:[0,1]
	v_add_f16_e32 v0, v0, v34
	v_alignbit_b32 v39, v1, v1, 16
	v_pk_add_f16 v1, v45, v54 neg_lo:[0,1] neg_hi:[0,1]
	v_pack_b32_f16 v75, v56, v56
	v_pk_mul_f16 v56, v56, s34 op_sel_hi:[0,1]
	v_add_f16_e32 v0, v0, v31
	v_pk_add_f16 v1, v72, v1
	v_pk_add_f16 v40, v46, v55 neg_lo:[0,1] neg_hi:[0,1]
	v_pack_b32_f16 v77, v57, v57
	v_pk_mul_f16 v57, v57, s35 op_sel_hi:[0,1]
	v_add_f16_e32 v0, v0, v32
	v_pk_add_f16 v1, v40, v1
	;; [unrolled: 5-line block ×6, first 2 shown]
	v_pk_add_f16 v40, v51, v64 neg_lo:[0,1] neg_hi:[0,1]
	v_pack_b32_f16 v58, v58, v58
	s_mov_b32 s41, 0xbbddbacd
	v_add_f16_e32 v0, v0, v38
	v_mad_u32_u24 v87, v4, 34, 0
	v_pk_add_f16 v1, v40, v1
	v_pk_add_f16 v40, v52, v68 neg_lo:[0,1] neg_hi:[0,1]
	v_pack_b32_f16 v59, v59, v59
	ds_write_b16 v87, v0
	v_pk_mul_f16 v0, v58, s41
	s_mov_b32 s42, 0x3b763722
	v_pk_mul_f16 v58, v58, s11
	s_mov_b32 s49, 0xba62bbb2
	v_pk_add_f16 v1, v40, v1
	v_pack_b32_f16 v61, v61, v61
	v_pk_mul_f16 v71, v59, s42
	s_mov_b32 s43, 0xbacd2de8
	v_pk_mul_f16 v59, v59, s10
	s_mov_b32 s50, 0x3bb23836
	v_alignbit_b32 v40, v1, v1, 16
	v_pk_fma_f16 v1, v70, s49, v58 neg_lo:[1,0,0] neg_hi:[1,0,0]
	v_pack_b32_f16 v63, v63, v63
	v_pk_mul_f16 v74, v61, s43
	s_mov_b32 s44, 0x39e9b8d2
	v_pk_mul_f16 v61, v61, s4
	s_mov_b32 s51, 0xb5c83964
	v_pk_add_f16 v1, v72, v1
	v_pk_fma_f16 v41, v73, s50, v59 neg_lo:[1,0,0] neg_hi:[1,0,0]
	v_pack_b32_f16 v65, v65, v65
	v_pk_mul_f16 v44, v63, s44
	s_mov_b32 s45, 0xb8d23b76
	v_pk_mul_f16 v63, v63, s14
	s_mov_b32 s52, 0xb836bb29
	v_pk_add_f16 v1, v41, v1
	;; [unrolled: 7-line block ×5, first 2 shown]
	v_pk_fma_f16 v41, v81, s54, v66 neg_lo:[1,0,0] neg_hi:[1,0,0]
	v_pk_mul_f16 v78, v69, s48
	v_pk_mul_f16 v69, v69, s6
	s_mov_b32 s56, 0x3b29ba62
	v_pk_add_f16 v1, v41, v1
	v_pk_fma_f16 v41, v83, s55, v67 neg_lo:[1,0,0] neg_hi:[1,0,0]
	s_mov_b32 s41, 0xb1e1b836
	v_pk_add_f16 v1, v41, v1
	v_pk_fma_f16 v41, v85, s56, v69 neg_lo:[1,0,0] neg_hi:[1,0,0]
	;; [unrolled: 3-line block ×9, first 2 shown]
	v_pk_add_f16 v1, v42, v1
	v_pk_fma_f16 v42, v85, s48, v78 neg_lo:[1,0,0] neg_hi:[1,0,0]
	v_pk_fma_f16 v0, v70, s41, v0
	v_pk_add_f16 v42, v42, v1
	v_pk_add_f16 v0, v72, v0
	v_pk_fma_f16 v1, v73, s42, v71
	v_pk_add_f16 v0, v1, v0
	v_pk_fma_f16 v1, v75, s43, v74
	;; [unrolled: 2-line block ×8, first 2 shown]
	ds_write_b128 v87, v[39:42] offset:2
	v_pk_add_f16 v1, v72, v1
	v_pk_fma_f16 v39, v73, s50, v59
	v_pk_add_f16 v1, v39, v1
	v_pk_fma_f16 v39, v75, s51, v61
	;; [unrolled: 2-line block ×7, first 2 shown]
	v_pk_add_f16 v1, v39, v1
	v_alignbit_b32 v0, v0, v0, 16
	v_alignbit_b32 v1, v1, v1, 16
	ds_write_b128 v87, v[0:3] offset:18
.LBB0_13:
	s_or_b64 exec, exec, s[2:3]
	v_sub_f16_e32 v68, v5, v38
	v_add_f16_e32 v47, v9, v23
	v_sub_f16_e32 v67, v24, v37
	v_pk_mul_f16 v45, v68, s23 op_sel_hi:[0,1]
	v_add_f16_e32 v48, v10, v22
	v_sub_f16_e32 v66, v25, v36
	v_pk_fma_f16 v0, v47, s4, v45 op_sel_hi:[0,1,1] neg_lo:[0,0,1] neg_hi:[0,0,1]
	v_pk_mul_f16 v51, v67, s25 op_sel_hi:[0,1]
	v_add_f16_e32 v49, v11, v20
	v_sub_f16_e32 v65, v26, v35
	v_pk_add_f16 v0, v8, v0 op_sel:[1,0]
	v_pk_fma_f16 v1, v48, s5, v51 op_sel_hi:[0,1,1] neg_lo:[0,0,1] neg_hi:[0,0,1]
	v_pk_mul_f16 v54, v66, s26 op_sel_hi:[0,1]
	v_add_f16_e32 v50, v12, v19
	v_sub_f16_e32 v64, v27, v33
	v_pk_add_f16 v0, v1, v0
	v_pk_fma_f16 v1, v49, s6, v54 op_sel_hi:[0,1,1] neg_lo:[0,0,1] neg_hi:[0,0,1]
	v_pk_mul_f16 v57, v65, s27 op_sel_hi:[0,1]
	v_add_f16_e32 v52, v15, v17
	v_sub_f16_e32 v63, v28, v32
	v_pk_add_f16 v0, v1, v0
	;; [unrolled: 5-line block ×4, first 2 shown]
	v_pk_fma_f16 v1, v53, s11, v59 op_sel_hi:[0,1,1] neg_lo:[0,0,1] neg_hi:[0,0,1]
	v_pk_mul_f16 v60, v62, s30 op_sel_hi:[0,1]
	v_add_f16_e32 v56, v13, v8
	v_pk_add_f16 v0, v1, v0
	v_pk_fma_f16 v1, v55, s14, v60 op_sel_hi:[0,1,1] neg_lo:[0,0,1] neg_hi:[0,0,1]
	v_pk_mul_f16 v46, v61, s40 op_sel_hi:[0,1]
	v_pk_add_f16 v0, v1, v0
	v_pk_fma_f16 v1, v56, s24, v46 op_sel_hi:[0,1,1] neg_lo:[0,0,1] neg_hi:[0,0,1]
	v_pk_mul_f16 v37, v68, s31 op_sel_hi:[0,1]
	v_pk_add_f16 v1, v1, v0
	v_pk_fma_f16 v0, v47, s15, v37 op_sel_hi:[0,1,1] neg_lo:[0,0,1] neg_hi:[0,0,1]
	v_pk_mul_f16 v38, v67, s33 op_sel_hi:[0,1]
	v_pk_add_f16 v0, v8, v0 op_sel:[1,0]
	v_pk_fma_f16 v5, v48, s16, v38 op_sel_hi:[0,1,1] neg_lo:[0,0,1] neg_hi:[0,0,1]
	v_pk_mul_f16 v39, v66, s34 op_sel_hi:[0,1]
	v_pk_add_f16 v0, v5, v0
	v_pk_fma_f16 v5, v49, s17, v39 op_sel_hi:[0,1,1] neg_lo:[0,0,1] neg_hi:[0,0,1]
	v_pk_mul_f16 v40, v65, s35 op_sel_hi:[0,1]
	v_pk_add_f16 v0, v5, v0
	;; [unrolled: 3-line block ×5, first 2 shown]
	v_pk_fma_f16 v5, v55, s21, v43 op_sel_hi:[0,1,1] neg_lo:[0,0,1] neg_hi:[0,0,1]
	v_pk_add_f16 v0, v5, v0
	v_lshl_add_u32 v5, v4, 1, 0
	s_waitcnt lgkmcnt(0)
	s_barrier
	ds_read_u16 v24, v5
	ds_read_u16 v36, v5 offset:306
	ds_read_u16 v35, v5 offset:612
	;; [unrolled: 1-line block ×12, first 2 shown]
	v_pk_mul_f16 v44, v61, s39 op_sel_hi:[0,1]
	v_pk_fma_f16 v69, v56, s22, v44 op_sel_hi:[0,1,1] neg_lo:[0,0,1] neg_hi:[0,0,1]
	v_pk_add_f16 v0, v69, v0
	s_waitcnt lgkmcnt(0)
	s_barrier
	s_and_saveexec_b64 s[2:3], s[0:1]
	s_cbranch_execz .LBB0_15
; %bb.14:
	v_add_f16_sdwa v9, v8, v9 dst_sel:DWORD dst_unused:UNUSED_PAD src0_sel:WORD_1 src1_sel:DWORD
	v_add_f16_e32 v9, v9, v10
	v_add_f16_e32 v9, v9, v11
	;; [unrolled: 1-line block ×4, first 2 shown]
	s_mov_b32 s0, 0x7060302
	v_add_f16_e32 v9, v9, v18
	v_pk_mul_f16 v70, v47, s4 op_sel_hi:[0,1]
	v_perm_b32 v71, v8, v8, s0
	v_add_f16_e32 v9, v9, v21
	s_mov_b32 s0, 0xffff
	v_pk_mul_f16 v73, v48, s5 op_sel_hi:[0,1]
	v_bfi_b32 v9, s0, v9, v70
	v_bfi_b32 v13, s0, v13, v45
	v_pk_mul_f16 v75, v49, s6 op_sel_hi:[0,1]
	v_pk_add_f16 v10, v73, v51
	v_pk_add_f16 v9, v9, v13
	v_pk_mul_f16 v77, v50, s7 op_sel_hi:[0,1]
	v_pk_add_f16 v11, v75, v54
	v_pk_add_f16 v9, v9, v8
	v_bfi_b32 v10, s0, v14, v10
	v_pk_mul_f16 v79, v52, s10 op_sel_hi:[0,1]
	v_pk_add_f16 v12, v77, v57
	v_pk_add_f16 v9, v9, v10
	v_bfi_b32 v10, s0, v16, v11
	;; [unrolled: 4-line block ×4, first 2 shown]
	v_pk_add_f16 v21, v83, v60
	v_pk_add_f16 v9, v9, v10
	v_bfi_b32 v10, s0, v20, v18
	v_pk_mul_f16 v85, v56, s24 op_sel_hi:[0,1]
	v_pk_add_f16 v9, v9, v10
	v_bfi_b32 v10, s0, v22, v21
	v_pk_add_f16 v9, v9, v10
	v_pk_add_f16 v10, v85, v46
	v_pack_b32_f16 v68, v68, v68
	v_bfi_b32 v10, s0, v23, v10
	s_mov_b32 s1, 0xbb29b964
	v_pack_b32_f16 v69, v47, v47
	v_pack_b32_f16 v67, v67, v67
	v_pk_add_f16 v10, v9, v10
	s_mov_b32 s0, 0x372239e9
	v_pk_mul_f16 v9, v68, s1
	s_mov_b32 s1, 0xba62bbf7
	v_pack_b32_f16 v72, v48, v48
	v_pk_fma_f16 v9, v69, s0, v9
	s_mov_b32 s0, 0xb8d22de8
	v_pk_mul_f16 v11, v67, s1
	v_pack_b32_f16 v66, v66, v66
	v_pk_add_f16 v9, v71, v9
	v_pk_fma_f16 v11, v72, s0, v11
	s_mov_b32 s1, 0x31e1ba62
	v_pack_b32_f16 v74, v49, v49
	v_pk_add_f16 v9, v11, v9
	s_mov_b32 s0, 0xbbddb8d2
	v_pk_mul_f16 v11, v66, s1
	v_pack_b32_f16 v65, v65, v65
	v_pk_fma_f16 v11, v74, s0, v11
	s_mov_b32 s1, 0x3bb2b1e1
	v_pack_b32_f16 v76, v50, v50
	v_pk_add_f16 v9, v11, v9
	s_mov_b32 s0, 0xb461bbdd
	v_pk_mul_f16 v11, v65, s1
	v_pack_b32_f16 v64, v64, v64
	;; [unrolled: 7-line block ×5, first 2 shown]
	v_pk_fma_f16 v11, v82, s0, v11
	s_mov_b32 s1, 0xb83635c8
	v_pack_b32_f16 v84, v56, v56
	v_pk_add_f16 v9, v11, v9
	s_mov_b32 s0, 0xbacd3b76
	v_pk_mul_f16 v11, v61, s1
	v_pk_mul_f16 v47, v47, s15 op_sel_hi:[0,1]
	v_pk_fma_f16 v11, v84, s0, v11
	v_pk_mul_f16 v48, v48, s16 op_sel_hi:[0,1]
	v_pk_add_f16 v11, v11, v9
	v_add_f16_e32 v9, v47, v37
	v_pk_mul_f16 v49, v49, s17 op_sel_hi:[0,1]
	v_add_f16_sdwa v8, v8, v9 dst_sel:DWORD dst_unused:UNUSED_PAD src0_sel:WORD_1 src1_sel:DWORD
	v_add_f16_e32 v9, v48, v38
	v_pk_mul_f16 v50, v50, s18 op_sel_hi:[0,1]
	v_add_f16_e32 v8, v9, v8
	v_add_f16_e32 v9, v49, v39
	v_pk_mul_f16 v52, v52, s19 op_sel_hi:[0,1]
	v_add_f16_e32 v8, v9, v8
	;; [unrolled: 3-line block ×5, first 2 shown]
	v_add_f16_e32 v9, v55, v43
	v_add_f16_e32 v8, v9, v8
	;; [unrolled: 1-line block ×3, first 2 shown]
	s_mov_b32 s1, 0xba62bbb2
	v_add_f16_e32 v12, v9, v8
	s_mov_b32 s0, 0xb8d2b461
	v_pk_mul_f16 v9, v68, s1
	s_mov_b32 s4, 0x3bb23836
	v_pk_fma_f16 v8, v69, s0, v9
	s_mov_b32 s1, 0xb461bacd
	v_pk_mul_f16 v13, v67, s4
	v_pk_add_f16 v8, v71, v8
	v_pk_fma_f16 v14, v72, s1, v13
	s_mov_b32 s5, 0xb5c83964
	v_pk_add_f16 v8, v14, v8
	s_mov_b32 s4, 0x3b7639e9
	v_pk_mul_f16 v14, v66, s5
	v_pk_fma_f16 v15, v74, s4, v14
	s_mov_b32 s6, 0xb836bb29
	v_pk_add_f16 v8, v15, v8
	s_mov_b32 s5, 0xbacd3722
	v_pk_mul_f16 v15, v65, s6
	;; [unrolled: 5-line block ×3, first 2 shown]
	v_pk_fma_f16 v9, v69, s0, v9 neg_lo:[0,0,1] neg_hi:[0,0,1]
	v_pk_fma_f16 v17, v78, s6, v16
	s_mov_b32 s10, 0xb9643bf7
	v_pk_add_f16 v9, v71, v9
	v_pk_fma_f16 v13, v72, s1, v13 neg_lo:[0,0,1] neg_hi:[0,0,1]
	v_pk_add_f16 v8, v17, v8
	s_mov_b32 s7, 0x39e92de8
	v_pk_mul_f16 v17, v63, s10
	v_pk_add_f16 v9, v13, v9
	v_pk_fma_f16 v13, v74, s4, v14 neg_lo:[0,0,1] neg_hi:[0,0,1]
	v_pk_fma_f16 v18, v80, s7, v17
	s_mov_b32 s11, 0xb1e1b5c8
	v_pk_add_f16 v9, v13, v9
	v_pk_fma_f16 v13, v76, s5, v15 neg_lo:[0,0,1] neg_hi:[0,0,1]
	v_pk_add_f16 v8, v18, v8
	s_mov_b32 s10, 0xbbdd3b76
	v_pk_mul_f16 v18, v62, s11
	v_pk_add_f16 v9, v13, v9
	;; [unrolled: 9-line block ×3, first 2 shown]
	v_pk_fma_f16 v13, v82, s10, v18 neg_lo:[0,0,1] neg_hi:[0,0,1]
	s_mov_b32 s1, 0xb1e1b836
	v_pk_add_f16 v9, v13, v9
	v_pk_fma_f16 v13, v84, s11, v19 neg_lo:[0,0,1] neg_hi:[0,0,1]
	s_mov_b32 s0, 0xbbddbacd
	v_pk_mul_f16 v14, v68, s1
	s_mov_b32 s4, 0x35c83b29
	v_pk_add_f16 v13, v13, v9
	v_pk_fma_f16 v9, v69, s0, v14
	s_mov_b32 s1, 0x3b763722
	v_pk_mul_f16 v15, v67, s4
	v_pk_add_f16 v9, v71, v9
	v_pk_fma_f16 v16, v72, s1, v15
	s_mov_b32 s5, 0xb836bbf7
	v_pk_add_f16 v9, v16, v9
	s_mov_b32 s4, 0xbacd2de8
	v_pk_mul_f16 v16, v66, s5
	v_pk_fma_f16 v17, v74, s4, v16
	s_mov_b32 s6, 0x39643a62
	v_pk_add_f16 v9, v17, v9
	s_mov_b32 s5, 0x39e9b8d2
	v_pk_mul_f16 v17, v65, s6
	;; [unrolled: 5-line block ×3, first 2 shown]
	v_pk_fma_f16 v14, v69, s0, v14 neg_lo:[0,0,1] neg_hi:[0,0,1]
	v_pk_fma_f16 v20, v84, s11, v19
	v_pk_fma_f16 v19, v78, s6, v18
	s_mov_b32 s10, 0x3b29b1e1
	v_pk_add_f16 v14, v71, v14
	v_pk_fma_f16 v15, v72, s1, v15 neg_lo:[0,0,1] neg_hi:[0,0,1]
	v_pk_add_f16 v9, v19, v9
	s_mov_b32 s7, 0x3722bbdd
	v_pk_mul_f16 v19, v63, s10
	v_pk_add_f16 v14, v15, v14
	v_pk_fma_f16 v15, v74, s4, v16 neg_lo:[0,0,1] neg_hi:[0,0,1]
	v_pk_add_f16 v8, v20, v8
	v_pk_fma_f16 v20, v80, s7, v19
	s_mov_b32 s11, 0xbbb23964
	v_pk_add_f16 v14, v15, v14
	v_pk_fma_f16 v15, v76, s5, v17 neg_lo:[0,0,1] neg_hi:[0,0,1]
	v_pk_add_f16 v9, v20, v9
	s_mov_b32 s10, 0xb46139e9
	v_pk_mul_f16 v20, v62, s11
	v_pk_add_f16 v14, v15, v14
	v_pk_fma_f16 v15, v78, s6, v18 neg_lo:[0,0,1] neg_hi:[0,0,1]
	v_pk_fma_f16 v21, v82, s10, v20
	s_mov_b32 s14, 0x3bf7bbb2
	v_pk_add_f16 v14, v15, v14
	v_pk_fma_f16 v15, v80, s7, v19 neg_lo:[0,0,1] neg_hi:[0,0,1]
	v_pk_add_f16 v9, v21, v9
	s_mov_b32 s11, 0x2de8b461
	v_pk_mul_f16 v21, v61, s14
	v_pk_add_f16 v14, v15, v14
	v_pk_fma_f16 v15, v82, s10, v20 neg_lo:[0,0,1] neg_hi:[0,0,1]
	v_pk_add_f16 v14, v15, v14
	v_pk_fma_f16 v15, v84, s11, v21 neg_lo:[0,0,1] neg_hi:[0,0,1]
	v_pk_fma_f16 v22, v84, s11, v21
	v_pk_add_f16 v14, v15, v14
	v_lshl_add_u32 v15, v4, 5, v5
	v_pk_add_f16 v9, v22, v9
	ds_write_b64 v15, v[10:11]
	ds_write_b16 v15, v12 offset:8
	v_alignbit_b32 v10, v14, v14, 16
	v_alignbit_b32 v11, v13, v13, 16
	ds_write_b128 v15, v[8:11] offset:10
	ds_write_b64 v15, v[0:1] offset:26
.LBB0_15:
	s_or_b64 exec, exec, s[2:3]
	s_movk_i32 s0, 0xf1
	v_mul_lo_u16_sdwa v8, v4, s0 dst_sel:DWORD dst_unused:UNUSED_PAD src0_sel:BYTE_0 src1_sel:DWORD
	v_lshrrev_b16_e32 v14, 12, v8
	v_mul_lo_u16_e32 v8, 17, v14
	v_sub_u16_e32 v22, v4, v8
	v_mov_b32_e32 v8, 12
	v_mul_u32_u24_sdwa v8, v22, v8 dst_sel:DWORD dst_unused:UNUSED_PAD src0_sel:BYTE_0 src1_sel:DWORD
	v_lshlrev_b32_e32 v8, 2, v8
	s_waitcnt lgkmcnt(0)
	s_barrier
	global_load_dwordx4 v[9:12], v8, s[8:9]
	global_load_dwordx4 v[18:21], v8, s[8:9] offset:16
	global_load_dwordx4 v[41:44], v8, s[8:9] offset:32
	ds_read_u16 v8, v5
	ds_read_u16 v13, v5 offset:306
	ds_read_u16 v15, v5 offset:612
	;; [unrolled: 1-line block ×12, first 2 shown]
	s_mov_b32 s6, 0xb9fd
	s_movk_i32 s4, 0x2fb7
	s_mov_b32 s5, 0xbbc4
	s_movk_i32 s10, 0x3b15
	s_movk_i32 s11, 0x388b
	s_mov_b32 s7, 0xb5ac
	s_mov_b32 s17, 0xb770ba95
	;; [unrolled: 1-line block ×25, first 2 shown]
	v_mul_u32_u24_e32 v14, 0x1ba, v14
	s_waitcnt vmcnt(0) lgkmcnt(0)
	s_barrier
	s_movk_i32 s0, 0x44
	v_cmp_gt_u32_e64 s[0:1], s0, v4
	v_mul_f16_sdwa v37, v13, v9 dst_sel:DWORD dst_unused:UNUSED_PAD src0_sel:DWORD src1_sel:WORD_1
	v_mul_f16_sdwa v38, v36, v9 dst_sel:DWORD dst_unused:UNUSED_PAD src0_sel:DWORD src1_sel:WORD_1
	;; [unrolled: 1-line block ×4, first 2 shown]
	v_fma_f16 v39, v36, v9, -v37
	v_mul_f16_sdwa v54, v16, v11 dst_sel:DWORD dst_unused:UNUSED_PAD src0_sel:DWORD src1_sel:WORD_1
	v_fma_f16 v40, v13, v9, v38
	v_fma_f16 v37, v35, v10, -v52
	v_fma_f16 v38, v15, v10, v53
	v_add_f16_e32 v10, v24, v39
	v_mul_f16_sdwa v56, v17, v12 dst_sel:DWORD dst_unused:UNUSED_PAD src0_sel:DWORD src1_sel:WORD_1
	v_fma_f16 v35, v34, v11, -v54
	v_add_f16_e32 v10, v10, v37
	v_mul_f16_sdwa v57, v33, v12 dst_sel:DWORD dst_unused:UNUSED_PAD src0_sel:DWORD src1_sel:WORD_1
	v_mul_f16_sdwa v58, v23, v18 dst_sel:DWORD dst_unused:UNUSED_PAD src0_sel:DWORD src1_sel:WORD_1
	v_fma_f16 v33, v33, v12, -v56
	v_add_f16_e32 v10, v10, v35
	v_mul_f16_sdwa v55, v34, v11 dst_sel:DWORD dst_unused:UNUSED_PAD src0_sel:DWORD src1_sel:WORD_1
	v_mul_f16_sdwa v60, v45, v19 dst_sel:DWORD dst_unused:UNUSED_PAD src0_sel:DWORD src1_sel:WORD_1
	v_fma_f16 v34, v17, v12, v57
	v_fma_f16 v17, v32, v18, -v58
	v_add_f16_e32 v10, v10, v33
	v_mul_f16_sdwa v62, v46, v20 dst_sel:DWORD dst_unused:UNUSED_PAD src0_sel:DWORD src1_sel:WORD_1
	v_fma_f16 v9, v31, v19, -v60
	v_add_f16_e32 v10, v10, v17
	v_mul_f16_sdwa v64, v47, v21 dst_sel:DWORD dst_unused:UNUSED_PAD src0_sel:DWORD src1_sel:WORD_1
	;; [unrolled: 3-line block ×3, first 2 shown]
	v_mul_f16_sdwa v66, v48, v41 dst_sel:DWORD dst_unused:UNUSED_PAD src0_sel:DWORD src1_sel:WORD_1
	v_fma_f16 v29, v29, v21, -v64
	v_add_f16_e32 v10, v10, v15
	v_mul_f16_sdwa v67, v28, v41 dst_sel:DWORD dst_unused:UNUSED_PAD src0_sel:DWORD src1_sel:WORD_1
	v_mul_f16_sdwa v68, v49, v42 dst_sel:DWORD dst_unused:UNUSED_PAD src0_sel:DWORD src1_sel:WORD_1
	;; [unrolled: 1-line block ×7, first 2 shown]
	v_fma_f16 v28, v28, v41, -v66
	v_add_f16_e32 v10, v10, v29
	v_mul_f16_sdwa v59, v32, v18 dst_sel:DWORD dst_unused:UNUSED_PAD src0_sel:DWORD src1_sel:WORD_1
	v_mul_f16_sdwa v61, v31, v19 dst_sel:DWORD dst_unused:UNUSED_PAD src0_sel:DWORD src1_sel:WORD_1
	v_fma_f16 v31, v48, v41, v67
	v_fma_f16 v27, v27, v42, -v68
	v_fma_f16 v32, v49, v42, v69
	v_fma_f16 v41, v26, v43, -v70
	;; [unrolled: 2-line block ×3, first 2 shown]
	v_fma_f16 v44, v51, v44, v73
	v_add_f16_e32 v10, v10, v28
	v_sub_f16_e32 v12, v40, v44
	v_add_f16_e32 v10, v10, v27
	v_fma_f16 v36, v16, v11, v55
	v_fma_f16 v13, v45, v19, v61
	v_add_f16_e32 v11, v39, v43
	v_mul_f16_e32 v19, 0xb94e, v12
	v_add_f16_e32 v10, v10, v41
	v_sub_f16_e32 v45, v38, v42
	v_mul_f16_sdwa v63, v30, v20 dst_sel:DWORD dst_unused:UNUSED_PAD src0_sel:DWORD src1_sel:WORD_1
	v_fma_f16 v30, v47, v21, v65
	v_fma_f16 v21, v11, s6, -v19
	v_fma_f16 v19, v11, s6, v19
	v_add_f16_e32 v25, v10, v43
	v_add_f16_e32 v26, v37, v41
	v_mul_f16_e32 v10, 0x3bf1, v45
	v_fma_f16 v16, v46, v20, v63
	v_mul_f16_e32 v20, 0xb3a8, v12
	v_add_f16_e32 v19, v24, v19
	v_fma_f16 v46, v26, s4, -v10
	v_fma_f16 v10, v26, s4, v10
	v_fma_f16 v18, v23, v18, v59
	v_fma_f16 v23, v11, s5, -v20
	v_add_f16_e32 v21, v24, v21
	v_add_f16_e32 v10, v10, v19
	v_mul_f16_e32 v19, 0x3770, v45
	v_fma_f16 v20, v11, s5, v20
	v_add_f16_e32 v23, v24, v23
	v_add_f16_e32 v21, v46, v21
	v_fma_f16 v46, v26, s10, -v19
	v_add_f16_e32 v20, v24, v20
	v_add_f16_e32 v23, v46, v23
	v_fma_f16 v19, v26, s10, v19
	v_sub_f16_e32 v46, v36, v32
	v_add_f16_e32 v19, v19, v20
	v_add_f16_e32 v20, v35, v27
	v_mul_f16_e32 v47, 0xba95, v46
	v_fma_f16 v48, v20, s11, -v47
	v_fma_f16 v47, v20, s11, v47
	v_add_f16_e32 v10, v47, v10
	v_mul_f16_e32 v47, 0xb94e, v46
	v_add_f16_e32 v21, v48, v21
	v_fma_f16 v48, v20, s6, -v47
	v_add_f16_e32 v23, v48, v23
	v_fma_f16 v47, v20, s6, v47
	v_sub_f16_e32 v48, v34, v31
	v_add_f16_e32 v19, v47, v19
	v_add_f16_e32 v47, v33, v28
	v_mul_f16_e32 v49, 0x33a8, v48
	v_fma_f16 v50, v47, s5, -v49
	v_fma_f16 v49, v47, s5, v49
	v_add_f16_e32 v10, v49, v10
	v_mul_f16_e32 v49, 0x3a95, v48
	v_add_f16_e32 v21, v50, v21
	v_fma_f16 v50, v47, s11, -v49
	;; [unrolled: 12-line block ×3, first 2 shown]
	v_fma_f16 v10, v49, s7, v10
	v_add_f16_e32 v19, v10, v19
	v_pk_mul_f16 v10, v12, s17 op_sel_hi:[0,1]
	v_pk_fma_f16 v54, v11, s14, v10 op_sel_hi:[0,1,1] neg_lo:[0,0,1] neg_hi:[0,0,1]
	v_pk_fma_f16 v10, v11, s14, v10 op_sel_hi:[0,1,1]
	v_pk_mul_f16 v56, v45, s19 op_sel_hi:[0,1]
	v_pk_add_f16 v10, v24, v10 op_sel_hi:[0,1]
	v_pk_fma_f16 v57, v26, s15, v56 op_sel_hi:[0,1,1] neg_lo:[0,0,1] neg_hi:[0,0,1]
	v_pk_fma_f16 v56, v26, s15, v56 op_sel_hi:[0,1,1]
	v_add_f16_sdwa v55, v24, v54 dst_sel:DWORD dst_unused:UNUSED_PAD src0_sel:DWORD src1_sel:WORD_1
	v_add_f16_e32 v54, v24, v54
	v_pk_add_f16 v10, v56, v10
	v_pk_mul_f16 v56, v46, s21 op_sel_hi:[0,1]
	v_add_f16_sdwa v55, v57, v55 dst_sel:DWORD dst_unused:UNUSED_PAD src0_sel:WORD_1 src1_sel:DWORD
	v_add_f16_e32 v54, v57, v54
	v_pk_fma_f16 v57, v20, s16, v56 op_sel_hi:[0,1,1] neg_lo:[0,0,1] neg_hi:[0,0,1]
	v_pk_fma_f16 v56, v20, s16, v56 op_sel_hi:[0,1,1]
	v_pk_add_f16 v10, v56, v10
	v_pk_mul_f16 v56, v48, s22 op_sel_hi:[0,1]
	v_add_f16_sdwa v55, v57, v55 dst_sel:DWORD dst_unused:UNUSED_PAD src0_sel:WORD_1 src1_sel:DWORD
	v_add_f16_e32 v54, v57, v54
	v_pk_fma_f16 v57, v47, s18, v56 op_sel_hi:[0,1,1] neg_lo:[0,0,1] neg_hi:[0,0,1]
	v_pk_fma_f16 v56, v47, s18, v56 op_sel_hi:[0,1,1]
	v_pk_add_f16 v10, v56, v10
	v_pk_mul_f16 v56, v50, s25 op_sel_hi:[0,1]
	v_sub_f16_e32 v53, v13, v16
	v_add_f16_sdwa v55, v57, v55 dst_sel:DWORD dst_unused:UNUSED_PAD src0_sel:WORD_1 src1_sel:DWORD
	v_add_f16_e32 v54, v57, v54
	v_pk_fma_f16 v57, v49, s20, v56 op_sel_hi:[0,1,1] neg_lo:[0,0,1] neg_hi:[0,0,1]
	v_pk_fma_f16 v56, v49, s20, v56 op_sel_hi:[0,1,1]
	v_add_f16_e32 v23, v52, v23
	v_add_f16_e32 v52, v9, v15
	v_pk_add_f16 v10, v56, v10
	v_pk_mul_f16 v56, v53, s27 op_sel_hi:[0,1]
	v_add_f16_sdwa v55, v57, v55 dst_sel:DWORD dst_unused:UNUSED_PAD src0_sel:WORD_1 src1_sel:DWORD
	v_add_f16_e32 v54, v57, v54
	v_pk_fma_f16 v57, v52, s23, v56 op_sel_hi:[0,1,1] neg_lo:[0,0,1] neg_hi:[0,0,1]
	v_pk_fma_f16 v56, v52, s23, v56 op_sel_hi:[0,1,1]
	v_pk_mul_f16 v12, v12, s29 op_sel_hi:[0,1]
	v_pk_add_f16 v10, v56, v10
	v_pk_fma_f16 v56, v11, s24, v12 op_sel_hi:[0,1,1] neg_lo:[0,0,1] neg_hi:[0,0,1]
	v_pk_fma_f16 v11, v11, s24, v12 op_sel_hi:[0,1,1]
	v_pk_mul_f16 v12, v45, s31 op_sel_hi:[0,1]
	v_add_f16_sdwa v55, v57, v55 dst_sel:DWORD dst_unused:UNUSED_PAD src0_sel:WORD_1 src1_sel:DWORD
	v_add_f16_e32 v54, v57, v54
	v_add_f16_e32 v57, v24, v56
	v_add_f16_sdwa v56, v24, v56 dst_sel:DWORD dst_unused:UNUSED_PAD src0_sel:DWORD src1_sel:WORD_1
	v_pk_add_f16 v11, v24, v11 op_sel_hi:[0,1]
	v_pk_fma_f16 v24, v26, s26, v12 op_sel_hi:[0,1,1] neg_lo:[0,0,1] neg_hi:[0,0,1]
	v_pk_fma_f16 v12, v26, s26, v12 op_sel_hi:[0,1,1]
	v_pk_add_f16 v11, v12, v11
	v_pk_mul_f16 v12, v46, s34 op_sel_hi:[0,1]
	v_pk_fma_f16 v26, v20, s28, v12 op_sel_hi:[0,1,1] neg_lo:[0,0,1] neg_hi:[0,0,1]
	v_pk_fma_f16 v12, v20, s28, v12 op_sel_hi:[0,1,1]
	v_pk_add_f16 v11, v12, v11
	v_pk_mul_f16 v12, v48, s35 op_sel_hi:[0,1]
	v_add_f16_e32 v45, v24, v57
	v_add_f16_sdwa v24, v24, v56 dst_sel:DWORD dst_unused:UNUSED_PAD src0_sel:WORD_1 src1_sel:DWORD
	v_pk_fma_f16 v20, v47, s30, v12 op_sel_hi:[0,1,1] neg_lo:[0,0,1] neg_hi:[0,0,1]
	v_pk_fma_f16 v12, v47, s30, v12 op_sel_hi:[0,1,1]
	v_add_f16_e32 v45, v26, v45
	v_add_f16_sdwa v24, v26, v24 dst_sel:DWORD dst_unused:UNUSED_PAD src0_sel:WORD_1 src1_sel:DWORD
	v_pk_add_f16 v11, v12, v11
	v_pk_mul_f16 v12, v50, s37 op_sel_hi:[0,1]
	v_add_f16_e32 v26, v20, v45
	v_add_f16_sdwa v20, v20, v24 dst_sel:DWORD dst_unused:UNUSED_PAD src0_sel:WORD_1 src1_sel:DWORD
	v_pk_fma_f16 v24, v49, s33, v12 op_sel_hi:[0,1,1] neg_lo:[0,0,1] neg_hi:[0,0,1]
	v_pk_fma_f16 v12, v49, s33, v12 op_sel_hi:[0,1,1]
	v_pk_add_f16 v11, v12, v11
	v_pk_mul_f16 v12, v53, s38 op_sel_hi:[0,1]
	v_add_f16_e32 v26, v24, v26
	v_add_f16_sdwa v20, v24, v20 dst_sel:DWORD dst_unused:UNUSED_PAD src0_sel:WORD_1 src1_sel:DWORD
	v_pk_fma_f16 v24, v52, s36, v12 op_sel_hi:[0,1,1] neg_lo:[0,0,1] neg_hi:[0,0,1]
	v_pk_fma_f16 v12, v52, s36, v12 op_sel_hi:[0,1,1]
	v_pk_add_f16 v11, v12, v11
	v_mul_f16_e32 v12, 0xbb7b, v53
	v_add_f16_e32 v26, v24, v26
	v_add_f16_sdwa v20, v24, v20 dst_sel:DWORD dst_unused:UNUSED_PAD src0_sel:WORD_1 src1_sel:DWORD
	v_fma_f16 v24, v52, s7, -v12
	v_add_f16_e32 v21, v24, v21
	v_mul_f16_e32 v24, 0x3bf1, v53
	v_fma_f16 v45, v52, s4, -v24
	v_fma_f16 v24, v52, s4, v24
	v_add_f16_e32 v19, v24, v19
	v_mov_b32_e32 v24, 1
	v_lshlrev_b32_sdwa v22, v24, v22 dst_sel:DWORD dst_unused:UNUSED_PAD src0_sel:DWORD src1_sel:BYTE_0
	v_fma_f16 v12, v52, s7, v12
	v_add_f16_e32 v23, v45, v23
	v_add3_u32 v45, 0, v14, v22
	v_add_f16_e32 v12, v12, v51
	ds_write_b16 v45, v25
	ds_write_b16 v45, v55 offset:34
	ds_write_b16 v45, v54 offset:68
	;; [unrolled: 1-line block ×8, first 2 shown]
	ds_write_b16_d16_hi v45, v11 offset:306
	ds_write_b16 v45, v11 offset:340
	ds_write_b16 v45, v10 offset:374
	ds_write_b16_d16_hi v45, v10 offset:408
	s_waitcnt lgkmcnt(0)
	s_barrier
	ds_read_u16 v14, v5
	ds_read_u16 v19, v5 offset:442
	ds_read_u16 v21, v5 offset:884
	;; [unrolled: 1-line block ×8, first 2 shown]
                                        ; implicit-def: $vgpr12
	s_and_saveexec_b64 s[2:3], s[0:1]
	s_cbranch_execz .LBB0_17
; %bb.16:
	ds_read_u16 v2, v5 offset:2074
	ds_read_u16 v3, v5 offset:2516
	ds_read_u16 v10, v5 offset:2958
	ds_read_u16 v11, v5 offset:3400
	ds_read_u16 v46, v5 offset:306
	ds_read_u16 v47, v5 offset:748
	ds_read_u16 v48, v5 offset:1190
	ds_read_u16 v49, v5 offset:1632
	ds_read_u16 v12, v5 offset:3842
	s_mov_b32 s39, 0x5040100
	s_waitcnt lgkmcnt(7)
	v_perm_b32 v2, v3, v2, s39
	s_waitcnt lgkmcnt(5)
	v_perm_b32 v3, v11, v10, s39
	;; [unrolled: 2-line block ×4, first 2 shown]
.LBB0_17:
	s_or_b64 exec, exec, s[2:3]
	v_add_f16_e32 v46, v8, v40
	v_add_f16_e32 v46, v46, v38
	;; [unrolled: 1-line block ×10, first 2 shown]
	v_sub_f16_e32 v39, v39, v43
	v_add_f16_e32 v46, v46, v42
	v_add_f16_e32 v40, v40, v44
	v_mul_f16_e32 v43, 0xb94e, v39
	v_sub_f16_e32 v37, v37, v41
	v_add_f16_e32 v46, v46, v44
	v_fma_f16 v44, v40, s6, v43
	v_fma_f16 v43, v40, s6, -v43
	v_add_f16_e32 v38, v38, v42
	v_mul_f16_e32 v41, 0x3bf1, v37
	v_sub_f16_e32 v27, v35, v27
	v_add_f16_e32 v43, v8, v43
	v_mul_f16_e32 v47, 0xb3a8, v39
	v_fma_f16 v42, v38, s4, v41
	v_fma_f16 v41, v38, s4, -v41
	v_add_f16_e32 v32, v36, v32
	v_mul_f16_e32 v35, 0xba95, v27
	v_sub_f16_e32 v28, v33, v28
	v_add_f16_e32 v44, v8, v44
	v_fma_f16 v48, v40, s5, v47
	v_add_f16_e32 v41, v41, v43
	v_mul_f16_e32 v43, 0x3770, v37
	v_fma_f16 v36, v32, s11, v35
	v_fma_f16 v35, v32, s11, -v35
	v_add_f16_e32 v31, v34, v31
	v_mul_f16_e32 v33, 0x33a8, v28
	v_sub_f16_e32 v17, v17, v29
	v_add_f16_e32 v48, v8, v48
	v_add_f16_e32 v42, v42, v44
	v_fma_f16 v44, v38, s10, v43
	v_add_f16_e32 v35, v35, v41
	v_mul_f16_e32 v41, 0xb94e, v27
	v_fma_f16 v34, v31, s5, v33
	v_fma_f16 v33, v31, s5, -v33
	v_add_f16_e32 v18, v18, v30
	v_mul_f16_e32 v29, 0x3770, v17
	v_fma_f16 v47, v40, s5, -v47
	v_add_f16_e32 v44, v44, v48
	v_add_f16_e32 v36, v36, v42
	v_fma_f16 v42, v32, s6, v41
	v_add_f16_e32 v33, v33, v35
	v_mul_f16_e32 v35, 0x3a95, v28
	v_fma_f16 v30, v18, s10, v29
	v_fma_f16 v29, v18, s10, -v29
	v_add_f16_e32 v47, v8, v47
	v_fma_f16 v43, v38, s10, -v43
	v_add_f16_e32 v42, v42, v44
	v_add_f16_e32 v34, v34, v36
	v_fma_f16 v36, v31, s11, v35
	v_add_f16_e32 v29, v29, v33
	v_mul_f16_e32 v33, 0xbb7b, v17
	v_add_f16_e32 v43, v43, v47
	v_fma_f16 v41, v32, s6, -v41
	v_add_f16_e32 v36, v36, v42
	v_add_f16_e32 v30, v30, v34
	v_fma_f16 v34, v18, s7, v33
	v_sub_f16_e32 v9, v9, v15
	v_pk_mul_f16 v15, v39, s17 op_sel_hi:[0,1]
	v_add_f16_e32 v41, v41, v43
	v_fma_f16 v35, v31, s11, -v35
	v_add_f16_e32 v34, v34, v36
	v_add_f16_e32 v13, v13, v16
	v_pk_fma_f16 v16, v40, s14, v15 op_sel_hi:[0,1,1]
	v_pk_fma_f16 v15, v40, s14, v15 op_sel_hi:[0,1,1] neg_lo:[0,0,1] neg_hi:[0,0,1]
	v_pk_mul_f16 v36, v37, s19 op_sel_hi:[0,1]
	v_add_f16_e32 v35, v35, v41
	v_fma_f16 v33, v18, s7, -v33
	v_pk_add_f16 v15, v8, v15 op_sel_hi:[0,1]
	v_pk_fma_f16 v41, v38, s15, v36 op_sel_hi:[0,1,1]
	v_pk_fma_f16 v36, v38, s15, v36 op_sel_hi:[0,1,1] neg_lo:[0,0,1] neg_hi:[0,0,1]
	v_add_f16_e32 v33, v33, v35
	v_add_f16_sdwa v35, v8, v16 dst_sel:DWORD dst_unused:UNUSED_PAD src0_sel:DWORD src1_sel:WORD_1
	v_add_f16_e32 v16, v8, v16
	v_pk_add_f16 v15, v36, v15
	v_pk_mul_f16 v36, v27, s21 op_sel_hi:[0,1]
	v_add_f16_sdwa v35, v41, v35 dst_sel:DWORD dst_unused:UNUSED_PAD src0_sel:WORD_1 src1_sel:DWORD
	v_add_f16_e32 v16, v41, v16
	v_pk_fma_f16 v41, v32, s16, v36 op_sel_hi:[0,1,1]
	v_pk_fma_f16 v36, v32, s16, v36 op_sel_hi:[0,1,1] neg_lo:[0,0,1] neg_hi:[0,0,1]
	v_pk_add_f16 v15, v36, v15
	v_pk_mul_f16 v36, v28, s22 op_sel_hi:[0,1]
	v_add_f16_sdwa v35, v41, v35 dst_sel:DWORD dst_unused:UNUSED_PAD src0_sel:WORD_1 src1_sel:DWORD
	v_add_f16_e32 v16, v41, v16
	v_pk_fma_f16 v41, v31, s18, v36 op_sel_hi:[0,1,1]
	v_pk_fma_f16 v36, v31, s18, v36 op_sel_hi:[0,1,1] neg_lo:[0,0,1] neg_hi:[0,0,1]
	;; [unrolled: 6-line block ×3, first 2 shown]
	v_pk_add_f16 v15, v36, v15
	v_pk_mul_f16 v36, v9, s27 op_sel_hi:[0,1]
	v_add_f16_sdwa v35, v41, v35 dst_sel:DWORD dst_unused:UNUSED_PAD src0_sel:WORD_1 src1_sel:DWORD
	v_add_f16_e32 v16, v41, v16
	v_pk_fma_f16 v41, v13, s23, v36 op_sel_hi:[0,1,1]
	v_add_f16_sdwa v35, v41, v35 dst_sel:DWORD dst_unused:UNUSED_PAD src0_sel:WORD_1 src1_sel:DWORD
	v_pk_fma_f16 v36, v13, s23, v36 op_sel_hi:[0,1,1] neg_lo:[0,0,1] neg_hi:[0,0,1]
	v_add_f16_e32 v41, v41, v16
	v_pk_mul_f16 v16, v39, s29 op_sel_hi:[0,1]
	v_pk_add_f16 v15, v36, v15
	v_pk_fma_f16 v36, v40, s24, v16 op_sel_hi:[0,1,1]
	v_pk_fma_f16 v16, v40, s24, v16 op_sel_hi:[0,1,1] neg_lo:[0,0,1] neg_hi:[0,0,1]
	v_add_f16_e32 v39, v8, v36
	v_add_f16_sdwa v36, v8, v36 dst_sel:DWORD dst_unused:UNUSED_PAD src0_sel:DWORD src1_sel:WORD_1
	v_pk_add_f16 v8, v8, v16 op_sel_hi:[0,1]
	v_pk_mul_f16 v16, v37, s31 op_sel_hi:[0,1]
	v_pk_fma_f16 v37, v38, s26, v16 op_sel_hi:[0,1,1]
	v_pk_fma_f16 v16, v38, s26, v16 op_sel_hi:[0,1,1] neg_lo:[0,0,1] neg_hi:[0,0,1]
	v_pk_add_f16 v8, v16, v8
	v_pk_mul_f16 v16, v27, s34 op_sel_hi:[0,1]
	v_pk_fma_f16 v27, v32, s28, v16 op_sel_hi:[0,1,1]
	v_pk_fma_f16 v16, v32, s28, v16 op_sel_hi:[0,1,1] neg_lo:[0,0,1] neg_hi:[0,0,1]
	v_pk_add_f16 v8, v16, v8
	v_pk_mul_f16 v16, v28, s35 op_sel_hi:[0,1]
	v_pk_fma_f16 v28, v31, s30, v16 op_sel_hi:[0,1,1]
	v_pk_fma_f16 v16, v31, s30, v16 op_sel_hi:[0,1,1] neg_lo:[0,0,1] neg_hi:[0,0,1]
	v_pk_add_f16 v8, v16, v8
	v_pk_mul_f16 v16, v17, s37 op_sel_hi:[0,1]
	v_add_f16_e32 v39, v37, v39
	v_add_f16_sdwa v36, v37, v36 dst_sel:DWORD dst_unused:UNUSED_PAD src0_sel:WORD_1 src1_sel:DWORD
	v_pk_fma_f16 v17, v18, s33, v16 op_sel_hi:[0,1,1]
	v_pk_fma_f16 v16, v18, s33, v16 op_sel_hi:[0,1,1] neg_lo:[0,0,1] neg_hi:[0,0,1]
	v_add_f16_e32 v37, v27, v39
	v_add_f16_sdwa v27, v27, v36 dst_sel:DWORD dst_unused:UNUSED_PAD src0_sel:WORD_1 src1_sel:DWORD
	v_pk_add_f16 v8, v16, v8
	v_pk_mul_f16 v16, v9, s38 op_sel_hi:[0,1]
	v_add_f16_e32 v32, v28, v37
	v_add_f16_sdwa v27, v28, v27 dst_sel:DWORD dst_unused:UNUSED_PAD src0_sel:WORD_1 src1_sel:DWORD
	v_pk_fma_f16 v18, v13, s36, v16 op_sel_hi:[0,1,1]
	v_pk_fma_f16 v16, v13, s36, v16 op_sel_hi:[0,1,1] neg_lo:[0,0,1] neg_hi:[0,0,1]
	v_add_f16_e32 v28, v17, v32
	v_add_f16_sdwa v17, v17, v27 dst_sel:DWORD dst_unused:UNUSED_PAD src0_sel:WORD_1 src1_sel:DWORD
	v_pk_add_f16 v16, v16, v8
	v_mul_f16_e32 v8, 0xbb7b, v9
	v_mul_f16_e32 v9, 0x3bf1, v9
	v_add_f16_e32 v27, v18, v28
	v_add_f16_sdwa v17, v18, v17 dst_sel:DWORD dst_unused:UNUSED_PAD src0_sel:WORD_1 src1_sel:DWORD
	v_fma_f16 v18, v13, s7, v8
	v_fma_f16 v8, v13, s7, -v8
	v_fma_f16 v28, v13, s4, v9
	v_fma_f16 v9, v13, s4, -v9
	v_add_f16_e32 v18, v18, v30
	v_add_f16_e32 v8, v8, v29
	v_add_f16_e32 v28, v28, v34
	v_add_f16_e32 v9, v9, v33
	s_waitcnt lgkmcnt(0)
	s_barrier
	ds_write_b16 v45, v46
	ds_write_b16 v45, v35 offset:34
	ds_write_b16 v45, v41 offset:68
	;; [unrolled: 1-line block ×8, first 2 shown]
	v_lshrrev_b32_e32 v13, 16, v16
	v_lshrrev_b32_e32 v17, 16, v15
	ds_write_b16 v45, v13 offset:306
	ds_write_b16 v45, v16 offset:340
	;; [unrolled: 1-line block ×4, first 2 shown]
	s_waitcnt lgkmcnt(0)
	s_barrier
	ds_read_u16 v27, v5
	ds_read_u16 v31, v5 offset:442
	ds_read_u16 v28, v5 offset:884
	;; [unrolled: 1-line block ×8, first 2 shown]
                                        ; implicit-def: $vgpr18
	s_and_saveexec_b64 s[2:3], s[0:1]
	s_cbranch_execz .LBB0_19
; %bb.18:
	ds_read_u16 v13, v5 offset:306
	ds_read_u16 v16, v5 offset:748
	;; [unrolled: 1-line block ×9, first 2 shown]
	s_mov_b32 s4, 0x5040100
	s_waitcnt lgkmcnt(3)
	v_perm_b32 v0, v1, v0, s4
	s_waitcnt lgkmcnt(1)
	v_perm_b32 v1, v9, v8, s4
.LBB0_19:
	s_or_b64 exec, exec, s[2:3]
	s_and_saveexec_b64 s[2:3], vcc
	s_cbranch_execz .LBB0_22
; %bb.20:
	v_lshlrev_b32_e32 v8, 3, v4
	v_mov_b32_e32 v9, 0
	v_lshlrev_b64 v[36:37], 2, v[8:9]
	v_mov_b32_e32 v5, s9
	v_add_co_u32_e32 v44, vcc, s8, v36
	v_addc_co_u32_e32 v45, vcc, v5, v37, vcc
	global_load_dwordx4 v[36:39], v[44:45], off offset:816
	global_load_dwordx4 v[40:43], v[44:45], off offset:832
	s_movk_i32 s5, 0x3a21
	s_mov_b32 s2, 0xb924
	s_movk_i32 s6, 0x318f
	s_movk_i32 s3, 0x3aee
	;; [unrolled: 1-line block ×3, first 2 shown]
	s_mov_b32 s7, 0xbb84
	s_movk_i32 s10, 0x3be1
	s_mov_b32 s11, 0xbaee
	s_movk_i32 s14, 0x3924
	s_waitcnt vmcnt(1) lgkmcnt(6)
	v_mul_f16_sdwa v53, v28, v37 dst_sel:DWORD dst_unused:UNUSED_PAD src0_sel:DWORD src1_sel:WORD_1
	s_waitcnt vmcnt(0) lgkmcnt(1)
	v_mul_f16_sdwa v52, v33, v42 dst_sel:DWORD dst_unused:UNUSED_PAD src0_sel:DWORD src1_sel:WORD_1
	s_waitcnt lgkmcnt(0)
	v_mul_f16_sdwa v56, v35, v43 dst_sel:DWORD dst_unused:UNUSED_PAD src0_sel:DWORD src1_sel:WORD_1
	v_mul_f16_sdwa v57, v31, v36 dst_sel:DWORD dst_unused:UNUSED_PAD src0_sel:DWORD src1_sel:WORD_1
	;; [unrolled: 1-line block ×14, first 2 shown]
	v_fma_f16 v26, v26, v42, -v52
	v_fma_f16 v21, v21, v37, -v53
	;; [unrolled: 1-line block ×4, first 2 shown]
	v_fma_f16 v5, v31, v36, v5
	v_fma_f16 v8, v35, v43, v8
	;; [unrolled: 1-line block ×8, first 2 shown]
	v_fma_f16 v25, v25, v40, -v50
	v_fma_f16 v24, v24, v39, -v51
	;; [unrolled: 1-line block ×4, first 2 shown]
	v_add_f16_e32 v39, v21, v26
	v_add_f16_e32 v41, v19, v23
	v_sub_f16_e32 v34, v5, v8
	v_sub_f16_e32 v37, v29, v30
	v_add_f16_e32 v40, v20, v22
	v_sub_f16_e32 v19, v19, v23
	v_sub_f16_e32 v20, v20, v22
	;; [unrolled: 1-line block ×3, first 2 shown]
	v_add_f16_e32 v23, v28, v33
	v_add_f16_e32 v5, v5, v8
	;; [unrolled: 1-line block ×3, first 2 shown]
	v_sub_f16_e32 v35, v31, v32
	v_sub_f16_e32 v36, v28, v33
	v_add_f16_e32 v38, v24, v25
	v_sub_f16_e32 v21, v21, v26
	v_add_f16_e32 v26, v29, v30
	v_add_f16_e32 v28, v31, v32
	v_mul_f16_e32 v8, 0x3be1, v37
	v_fma_f16 v31, v39, s5, v14
	v_mul_f16_e32 v32, 0x3be1, v22
	v_fma_f16 v33, v23, s5, v27
	v_add_f16_e32 v42, v5, v23
	v_add_f16_e32 v45, v40, v43
	v_fma_f16 v8, v36, s2, -v8
	v_fma_f16 v31, v38, s6, v31
	v_fma_f16 v32, v21, s2, -v32
	v_fma_f16 v33, v26, s6, v33
	v_add_f16_e32 v44, v28, v42
	v_add_f16_e32 v24, v24, v45
	v_fma_f16 v8, v35, s3, v8
	v_fma_f16 v31, v40, -0.5, v31
	v_fma_f16 v32, v20, s3, v32
	v_fma_f16 v33, v28, -0.5, v33
	v_add_f16_e32 v29, v29, v44
	v_add_f16_e32 v24, v25, v24
	;; [unrolled: 1-line block ×5, first 2 shown]
	v_fma_f16 v8, v34, s4, v8
	v_fma_f16 v31, v41, s7, v31
	;; [unrolled: 1-line block ×4, first 2 shown]
	v_sub_f16_e32 v25, v25, v36
	v_fma_f16 v43, v43, -0.5, v44
	v_add_f16_e32 v29, v30, v29
	v_add_f16_e32 v30, v8, v31
	v_sub_f16_e32 v31, v33, v32
	v_mul_f16_e32 v33, 0x3aee, v25
	v_fma_f16 v25, v25, s3, v43
	v_add_f16_e32 v43, v27, v28
	v_add_f16_e32 v42, v42, v26
	v_mul_f16_e32 v47, 0xb924, v22
	v_fma_f16 v42, v42, -0.5, v43
	v_add_f16_e32 v43, v19, v22
	v_fma_f16 v47, v19, s10, v47
	v_sub_f16_e32 v43, v43, v21
	v_fma_f16 v46, v26, s5, v27
	v_fma_f16 v47, v20, s11, v47
	v_mul_f16_e32 v44, 0x3aee, v43
	v_fma_f16 v42, v43, s11, v42
	v_fma_f16 v46, v5, s6, v46
	;; [unrolled: 1-line block ×3, first 2 shown]
	v_mul_f16_e32 v21, 0x3be1, v21
	v_fma_f16 v5, v5, s5, v27
	v_fma_f16 v43, v44, 2.0, v42
	v_mul_f16_e32 v44, 0xb924, v37
	v_fma_f16 v19, v19, s14, v21
	v_fma_f16 v5, v23, s6, v5
	;; [unrolled: 1-line block ×4, first 2 shown]
	v_fma_f16 v5, v28, -0.5, v5
	v_fma_f16 v44, v35, s11, v44
	v_fma_f16 v19, v22, s4, v19
	;; [unrolled: 1-line block ×3, first 2 shown]
	v_add_f16_e32 v24, v14, v24
	v_fma_f16 v44, v36, s4, v44
	v_fma_f16 v45, v38, s5, v14
	v_mul_f16_e32 v36, 0x3be1, v36
	v_fma_f16 v14, v41, s5, v14
	v_sub_f16_e32 v20, v5, v19
	v_mov_b32_e32 v5, v9
	v_fma_f16 v34, v34, s14, v36
	v_fma_f16 v14, v39, s6, v14
	v_mov_b32_e32 v21, s13
	v_add_co_u32_e32 v22, vcc, s12, v6
	v_lshlrev_b64 v[5:6], 2, v[4:5]
	v_fma_f16 v45, v41, s6, v45
	v_fma_f16 v34, v35, s3, v34
	v_fma_f16 v14, v40, -0.5, v14
	v_addc_co_u32_e32 v7, vcc, v21, v7, vcc
	v_add_f16_e32 v29, v27, v29
	v_fma_f16 v45, v40, -0.5, v45
	v_fma_f16 v46, v28, -0.5, v46
	v_fma_f16 v34, v37, s4, v34
	v_fma_f16 v14, v38, s7, v14
	v_add_co_u32_e32 v5, vcc, v22, v5
	v_fma_f16 v45, v39, s7, v45
	v_fma_f16 v46, v23, s7, v46
	v_add_f16_e32 v14, v34, v14
	v_addc_co_u32_e32 v6, vcc, v7, v6, vcc
	v_pack_b32_f16 v7, v24, v29
	v_add_f16_e32 v45, v44, v45
	v_sub_f16_e32 v46, v46, v47
	global_store_dword v[5:6], v7, off
	v_pack_b32_f16 v7, v14, v20
	global_store_dword v[5:6], v7, off offset:884
	v_pack_b32_f16 v7, v45, v46
	global_store_dword v[5:6], v7, off offset:1768
	;; [unrolled: 2-line block ×3, first 2 shown]
	v_pack_b32_f16 v7, v30, v31
	v_fma_f16 v8, v8, -2.0, v30
	v_fma_f16 v32, v32, 2.0, v31
	global_store_dword v[5:6], v7, off offset:3536
	v_add_co_u32_e32 v7, vcc, 0x1000, v5
	v_fma_f16 v33, v33, -2.0, v25
	v_fma_f16 v34, v34, -2.0, v14
	v_pack_b32_f16 v14, v8, v32
	v_addc_co_u32_e32 v8, vcc, 0, v6, vcc
	v_fma_f16 v44, v44, -2.0, v45
	v_fma_f16 v47, v47, 2.0, v46
	global_store_dword v[7:8], v14, off offset:324
	v_pack_b32_f16 v14, v33, v43
	v_fma_f16 v19, v19, 2.0, v20
	global_store_dword v[7:8], v14, off offset:1208
	v_pack_b32_f16 v14, v44, v47
	global_store_dword v[7:8], v14, off offset:2092
	v_pack_b32_f16 v14, v34, v19
	global_store_dword v[7:8], v14, off offset:2976
	s_and_b64 exec, exec, s[0:1]
	s_cbranch_execz .LBB0_22
; %bb.21:
	v_mov_b32_e32 v7, 0xffffffbc
	v_mov_b32_e32 v8, 0x99
	v_cndmask_b32_e64 v7, v7, v8, s[0:1]
	v_add_lshl_u32 v8, v4, v7, 3
	v_lshlrev_b64 v[7:8], 2, v[8:9]
	v_mov_b32_e32 v4, s9
	v_add_co_u32_e32 v7, vcc, s8, v7
	v_addc_co_u32_e32 v8, vcc, v4, v8, vcc
	global_load_dwordx4 v[19:22], v[7:8], off offset:816
	global_load_dwordx4 v[23:26], v[7:8], off offset:832
	v_lshrrev_b32_e32 v4, 16, v10
	v_lshrrev_b32_e32 v8, 16, v0
	;; [unrolled: 1-line block ×6, first 2 shown]
	s_waitcnt vmcnt(1)
	v_mul_f16_sdwa v28, v16, v19 dst_sel:DWORD dst_unused:UNUSED_PAD src0_sel:DWORD src1_sel:WORD_1
	v_mul_f16_sdwa v29, v11, v19 dst_sel:DWORD dst_unused:UNUSED_PAD src0_sel:DWORD src1_sel:WORD_1
	s_waitcnt vmcnt(0)
	v_mul_f16_sdwa v42, v18, v26 dst_sel:DWORD dst_unused:UNUSED_PAD src0_sel:DWORD src1_sel:WORD_1
	v_mul_f16_sdwa v43, v12, v26 dst_sel:DWORD dst_unused:UNUSED_PAD src0_sel:DWORD src1_sel:WORD_1
	;; [unrolled: 1-line block ×12, first 2 shown]
	v_fma_f16 v11, v11, v19, -v28
	v_fma_f16 v16, v16, v19, v29
	v_fma_f16 v12, v12, v26, -v42
	v_fma_f16 v18, v18, v26, v43
	v_mul_f16_sdwa v35, v2, v22 dst_sel:DWORD dst_unused:UNUSED_PAD src0_sel:DWORD src1_sel:WORD_1
	v_mul_f16_sdwa v37, v7, v23 dst_sel:DWORD dst_unused:UNUSED_PAD src0_sel:DWORD src1_sel:WORD_1
	v_fma_f16 v10, v10, v20, -v30
	v_fma_f16 v15, v15, v20, v31
	v_fma_f16 v4, v4, v21, -v32
	v_fma_f16 v17, v17, v21, v33
	v_fma_f16 v2, v2, v22, -v34
	v_fma_f16 v7, v7, v23, -v36
	;; [unrolled: 1-line block ×3, first 2 shown]
	v_fma_f16 v1, v1, v24, v39
	v_fma_f16 v9, v9, v25, -v40
	v_fma_f16 v14, v14, v25, v41
	v_add_f16_e32 v19, v11, v12
	v_sub_f16_e32 v11, v11, v12
	v_sub_f16_e32 v12, v16, v18
	v_fma_f16 v8, v8, v23, v37
	v_add_f16_e32 v20, v16, v18
	v_add_f16_e32 v21, v10, v9
	;; [unrolled: 1-line block ×4, first 2 shown]
	v_sub_f16_e32 v9, v10, v9
	v_sub_f16_e32 v10, v15, v14
	;; [unrolled: 1-line block ×5, first 2 shown]
	v_mul_f16_e32 v17, 0x3924, v11
	v_mul_f16_e32 v18, 0x3924, v12
	v_fma_f16 v0, v0, v22, v35
	v_mul_f16_e32 v28, 0xb924, v4
	v_fma_f16 v17, v9, s10, v17
	v_fma_f16 v18, v10, s10, v18
	v_add_f16_e32 v22, v15, v14
	v_sub_f16_e32 v14, v0, v8
	v_fma_f16 v28, v11, s10, v28
	v_fma_f16 v17, v3, s3, v17
	;; [unrolled: 1-line block ×3, first 2 shown]
	v_mul_f16_e32 v29, 0xb924, v14
	v_fma_f16 v28, v3, s11, v28
	v_fma_f16 v17, v4, s4, v17
	;; [unrolled: 1-line block ×3, first 2 shown]
	v_add_f16_e32 v32, v4, v11
	v_add_f16_e32 v33, v14, v12
	v_mul_f16_e32 v4, 0x3be1, v4
	v_mul_f16_e32 v14, 0x3be1, v14
	v_fma_f16 v29, v12, s10, v29
	v_fma_f16 v28, v9, s4, v28
	v_sub_f16_e32 v32, v32, v9
	v_add_f16_e32 v38, v21, v19
	v_add_f16_e32 v39, v22, v20
	v_fma_f16 v4, v9, s2, -v4
	v_fma_f16 v9, v10, s2, -v14
	v_add_f16_e32 v15, v2, v7
	v_add_f16_e32 v16, v0, v8
	v_fma_f16 v25, v19, s5, v27
	v_fma_f16 v26, v20, s5, v13
	;; [unrolled: 1-line block ×5, first 2 shown]
	v_add_f16_e32 v4, v23, v38
	v_add_f16_e32 v9, v24, v39
	v_fma_f16 v30, v15, s5, v27
	v_fma_f16 v25, v21, s6, v25
	;; [unrolled: 1-line block ×4, first 2 shown]
	v_add_f16_e32 v2, v2, v4
	v_add_f16_e32 v0, v0, v9
	v_fma_f16 v25, v23, -0.5, v25
	v_fma_f16 v26, v24, -0.5, v26
	v_fma_f16 v30, v19, s6, v30
	v_fma_f16 v31, v20, s6, v31
	v_add_f16_e32 v2, v7, v2
	v_add_f16_e32 v0, v8, v0
	v_fma_f16 v25, v15, s7, v25
	v_fma_f16 v26, v16, s7, v26
	v_fma_f16 v30, v23, -0.5, v30
	v_fma_f16 v31, v24, -0.5, v31
	v_add_f16_e32 v2, v27, v2
	v_add_f16_e32 v0, v13, v0
	v_fma_f16 v29, v10, s4, v29
	v_add_f16_e32 v25, v18, v25
	v_sub_f16_e32 v26, v26, v17
	v_fma_f16 v30, v21, s7, v30
	v_fma_f16 v31, v22, s7, v31
	v_add_f16_e32 v36, v27, v23
	v_add_f16_e32 v37, v13, v24
	;; [unrolled: 1-line block ×4, first 2 shown]
	v_fma_f16 v4, v21, s5, v27
	v_fma_f16 v7, v22, s5, v13
	v_pack_b32_f16 v0, v2, v0
	v_add_f16_e32 v30, v29, v30
	v_sub_f16_e32 v31, v31, v28
	v_sub_f16_e32 v33, v33, v10
	v_fma_f16 v36, v40, -0.5, v36
	v_fma_f16 v37, v41, -0.5, v37
	v_fma_f16 v4, v15, s6, v4
	v_fma_f16 v7, v16, s6, v7
	global_store_dword v[5:6], v0, off offset:612
	v_pack_b32_f16 v0, v25, v26
	v_mul_f16_e32 v34, 0x3aee, v32
	v_mul_f16_e32 v35, 0x3aee, v33
	v_fma_f16 v33, v33, s3, v36
	v_fma_f16 v32, v32, s11, v37
	v_fma_f16 v4, v23, -0.5, v4
	v_fma_f16 v7, v24, -0.5, v7
	global_store_dword v[5:6], v0, off offset:1496
	v_pack_b32_f16 v0, v30, v31
	v_fma_f16 v3, v11, s4, v3
	v_fma_f16 v1, v12, s4, v1
	;; [unrolled: 1-line block ×4, first 2 shown]
	global_store_dword v[5:6], v0, off offset:2380
	v_pack_b32_f16 v0, v33, v32
	v_add_f16_e32 v4, v1, v4
	v_sub_f16_e32 v7, v7, v3
	global_store_dword v[5:6], v0, off offset:3264
	v_add_co_u32_e32 v0, vcc, 0x1000, v5
	v_fma_f16 v8, v1, -2.0, v4
	v_fma_f16 v3, v3, 2.0, v7
	v_pack_b32_f16 v2, v4, v7
	v_addc_co_u32_e32 v1, vcc, 0, v6, vcc
	v_fma_f16 v35, v35, -2.0, v33
	v_fma_f16 v34, v34, 2.0, v32
	global_store_dword v[0:1], v2, off offset:52
	v_pack_b32_f16 v2, v8, v3
	v_fma_f16 v29, v29, -2.0, v30
	v_fma_f16 v28, v28, 2.0, v31
	global_store_dword v[0:1], v2, off offset:936
	v_pack_b32_f16 v2, v35, v34
	;; [unrolled: 4-line block ×3, first 2 shown]
	global_store_dword v[0:1], v2, off offset:2704
	v_pack_b32_f16 v2, v18, v17
	global_store_dword v[0:1], v2, off offset:3588
.LBB0_22:
	s_endpgm
	.section	.rodata,"a",@progbits
	.p2align	6, 0x0
	.amdhsa_kernel fft_rtc_fwd_len1989_factors_17_13_9_wgs_153_tpt_153_halfLds_half_ip_CI_unitstride_sbrr_dirReg
		.amdhsa_group_segment_fixed_size 0
		.amdhsa_private_segment_fixed_size 0
		.amdhsa_kernarg_size 88
		.amdhsa_user_sgpr_count 6
		.amdhsa_user_sgpr_private_segment_buffer 1
		.amdhsa_user_sgpr_dispatch_ptr 0
		.amdhsa_user_sgpr_queue_ptr 0
		.amdhsa_user_sgpr_kernarg_segment_ptr 1
		.amdhsa_user_sgpr_dispatch_id 0
		.amdhsa_user_sgpr_flat_scratch_init 0
		.amdhsa_user_sgpr_private_segment_size 0
		.amdhsa_uses_dynamic_stack 0
		.amdhsa_system_sgpr_private_segment_wavefront_offset 0
		.amdhsa_system_sgpr_workgroup_id_x 1
		.amdhsa_system_sgpr_workgroup_id_y 0
		.amdhsa_system_sgpr_workgroup_id_z 0
		.amdhsa_system_sgpr_workgroup_info 0
		.amdhsa_system_vgpr_workitem_id 0
		.amdhsa_next_free_vgpr 89
		.amdhsa_next_free_sgpr 57
		.amdhsa_reserve_vcc 1
		.amdhsa_reserve_flat_scratch 0
		.amdhsa_float_round_mode_32 0
		.amdhsa_float_round_mode_16_64 0
		.amdhsa_float_denorm_mode_32 3
		.amdhsa_float_denorm_mode_16_64 3
		.amdhsa_dx10_clamp 1
		.amdhsa_ieee_mode 1
		.amdhsa_fp16_overflow 0
		.amdhsa_exception_fp_ieee_invalid_op 0
		.amdhsa_exception_fp_denorm_src 0
		.amdhsa_exception_fp_ieee_div_zero 0
		.amdhsa_exception_fp_ieee_overflow 0
		.amdhsa_exception_fp_ieee_underflow 0
		.amdhsa_exception_fp_ieee_inexact 0
		.amdhsa_exception_int_div_zero 0
	.end_amdhsa_kernel
	.text
.Lfunc_end0:
	.size	fft_rtc_fwd_len1989_factors_17_13_9_wgs_153_tpt_153_halfLds_half_ip_CI_unitstride_sbrr_dirReg, .Lfunc_end0-fft_rtc_fwd_len1989_factors_17_13_9_wgs_153_tpt_153_halfLds_half_ip_CI_unitstride_sbrr_dirReg
                                        ; -- End function
	.section	.AMDGPU.csdata,"",@progbits
; Kernel info:
; codeLenInByte = 12024
; NumSgprs: 61
; NumVgprs: 89
; ScratchSize: 0
; MemoryBound: 0
; FloatMode: 240
; IeeeMode: 1
; LDSByteSize: 0 bytes/workgroup (compile time only)
; SGPRBlocks: 7
; VGPRBlocks: 22
; NumSGPRsForWavesPerEU: 61
; NumVGPRsForWavesPerEU: 89
; Occupancy: 2
; WaveLimiterHint : 1
; COMPUTE_PGM_RSRC2:SCRATCH_EN: 0
; COMPUTE_PGM_RSRC2:USER_SGPR: 6
; COMPUTE_PGM_RSRC2:TRAP_HANDLER: 0
; COMPUTE_PGM_RSRC2:TGID_X_EN: 1
; COMPUTE_PGM_RSRC2:TGID_Y_EN: 0
; COMPUTE_PGM_RSRC2:TGID_Z_EN: 0
; COMPUTE_PGM_RSRC2:TIDIG_COMP_CNT: 0
	.type	__hip_cuid_767e155a8a2971e1,@object ; @__hip_cuid_767e155a8a2971e1
	.section	.bss,"aw",@nobits
	.globl	__hip_cuid_767e155a8a2971e1
__hip_cuid_767e155a8a2971e1:
	.byte	0                               ; 0x0
	.size	__hip_cuid_767e155a8a2971e1, 1

	.ident	"AMD clang version 19.0.0git (https://github.com/RadeonOpenCompute/llvm-project roc-6.4.0 25133 c7fe45cf4b819c5991fe208aaa96edf142730f1d)"
	.section	".note.GNU-stack","",@progbits
	.addrsig
	.addrsig_sym __hip_cuid_767e155a8a2971e1
	.amdgpu_metadata
---
amdhsa.kernels:
  - .args:
      - .actual_access:  read_only
        .address_space:  global
        .offset:         0
        .size:           8
        .value_kind:     global_buffer
      - .offset:         8
        .size:           8
        .value_kind:     by_value
      - .actual_access:  read_only
        .address_space:  global
        .offset:         16
        .size:           8
        .value_kind:     global_buffer
      - .actual_access:  read_only
        .address_space:  global
        .offset:         24
        .size:           8
        .value_kind:     global_buffer
      - .offset:         32
        .size:           8
        .value_kind:     by_value
      - .actual_access:  read_only
        .address_space:  global
        .offset:         40
        .size:           8
        .value_kind:     global_buffer
      - .actual_access:  read_only
        .address_space:  global
        .offset:         48
        .size:           8
        .value_kind:     global_buffer
      - .offset:         56
        .size:           4
        .value_kind:     by_value
      - .actual_access:  read_only
        .address_space:  global
        .offset:         64
        .size:           8
        .value_kind:     global_buffer
      - .actual_access:  read_only
        .address_space:  global
        .offset:         72
        .size:           8
        .value_kind:     global_buffer
      - .address_space:  global
        .offset:         80
        .size:           8
        .value_kind:     global_buffer
    .group_segment_fixed_size: 0
    .kernarg_segment_align: 8
    .kernarg_segment_size: 88
    .language:       OpenCL C
    .language_version:
      - 2
      - 0
    .max_flat_workgroup_size: 153
    .name:           fft_rtc_fwd_len1989_factors_17_13_9_wgs_153_tpt_153_halfLds_half_ip_CI_unitstride_sbrr_dirReg
    .private_segment_fixed_size: 0
    .sgpr_count:     61
    .sgpr_spill_count: 0
    .symbol:         fft_rtc_fwd_len1989_factors_17_13_9_wgs_153_tpt_153_halfLds_half_ip_CI_unitstride_sbrr_dirReg.kd
    .uniform_work_group_size: 1
    .uses_dynamic_stack: false
    .vgpr_count:     89
    .vgpr_spill_count: 0
    .wavefront_size: 64
amdhsa.target:   amdgcn-amd-amdhsa--gfx906
amdhsa.version:
  - 1
  - 2
...

	.end_amdgpu_metadata
